;; amdgpu-corpus repo=ROCm/rocFFT kind=compiled arch=gfx1201 opt=O3
	.text
	.amdgcn_target "amdgcn-amd-amdhsa--gfx1201"
	.amdhsa_code_object_version 6
	.protected	fft_rtc_back_len1344_factors_2_2_2_2_2_2_3_7_wgs_224_tpt_224_halfLds_sp_op_CI_CI_unitstride_sbrr_C2R_dirReg ; -- Begin function fft_rtc_back_len1344_factors_2_2_2_2_2_2_3_7_wgs_224_tpt_224_halfLds_sp_op_CI_CI_unitstride_sbrr_C2R_dirReg
	.globl	fft_rtc_back_len1344_factors_2_2_2_2_2_2_3_7_wgs_224_tpt_224_halfLds_sp_op_CI_CI_unitstride_sbrr_C2R_dirReg
	.p2align	8
	.type	fft_rtc_back_len1344_factors_2_2_2_2_2_2_3_7_wgs_224_tpt_224_halfLds_sp_op_CI_CI_unitstride_sbrr_C2R_dirReg,@function
fft_rtc_back_len1344_factors_2_2_2_2_2_2_3_7_wgs_224_tpt_224_halfLds_sp_op_CI_CI_unitstride_sbrr_C2R_dirReg: ; @fft_rtc_back_len1344_factors_2_2_2_2_2_2_3_7_wgs_224_tpt_224_halfLds_sp_op_CI_CI_unitstride_sbrr_C2R_dirReg
; %bb.0:
	s_clause 0x2
	s_load_b128 s[8:11], s[0:1], 0x0
	s_load_b128 s[4:7], s[0:1], 0x58
	;; [unrolled: 1-line block ×3, first 2 shown]
	v_mul_u32_u24_e32 v1, 0x125, v0
	v_mov_b32_e32 v3, 0
	s_delay_alu instid0(VALU_DEP_2) | instskip(NEXT) | instid1(VALU_DEP_1)
	v_lshrrev_b32_e32 v1, 16, v1
	v_add_nc_u32_e32 v5, ttmp9, v1
	v_mov_b32_e32 v1, 0
	v_mov_b32_e32 v2, 0
	;; [unrolled: 1-line block ×3, first 2 shown]
	s_wait_kmcnt 0x0
	v_cmp_lt_u64_e64 s2, s[10:11], 2
	s_delay_alu instid0(VALU_DEP_1)
	s_and_b32 vcc_lo, exec_lo, s2
	s_cbranch_vccnz .LBB0_8
; %bb.1:
	s_load_b64 s[2:3], s[0:1], 0x10
	v_mov_b32_e32 v1, 0
	v_mov_b32_e32 v2, 0
	s_add_nc_u64 s[16:17], s[14:15], 8
	s_add_nc_u64 s[18:19], s[12:13], 8
	s_mov_b64 s[20:21], 1
	s_delay_alu instid0(VALU_DEP_1)
	v_dual_mov_b32 v13, v2 :: v_dual_mov_b32 v12, v1
	s_wait_kmcnt 0x0
	s_add_nc_u64 s[22:23], s[2:3], 8
	s_mov_b32 s3, 0
.LBB0_2:                                ; =>This Inner Loop Header: Depth=1
	s_load_b64 s[24:25], s[22:23], 0x0
                                        ; implicit-def: $vgpr14_vgpr15
	s_mov_b32 s2, exec_lo
	s_wait_kmcnt 0x0
	v_or_b32_e32 v4, s25, v6
	s_delay_alu instid0(VALU_DEP_1)
	v_cmpx_ne_u64_e32 0, v[3:4]
	s_wait_alu 0xfffe
	s_xor_b32 s26, exec_lo, s2
	s_cbranch_execz .LBB0_4
; %bb.3:                                ;   in Loop: Header=BB0_2 Depth=1
	s_cvt_f32_u32 s2, s24
	s_cvt_f32_u32 s27, s25
	s_sub_nc_u64 s[30:31], 0, s[24:25]
	s_wait_alu 0xfffe
	s_delay_alu instid0(SALU_CYCLE_1) | instskip(SKIP_1) | instid1(SALU_CYCLE_2)
	s_fmamk_f32 s2, s27, 0x4f800000, s2
	s_wait_alu 0xfffe
	v_s_rcp_f32 s2, s2
	s_delay_alu instid0(TRANS32_DEP_1) | instskip(SKIP_1) | instid1(SALU_CYCLE_2)
	s_mul_f32 s2, s2, 0x5f7ffffc
	s_wait_alu 0xfffe
	s_mul_f32 s27, s2, 0x2f800000
	s_wait_alu 0xfffe
	s_delay_alu instid0(SALU_CYCLE_2) | instskip(SKIP_1) | instid1(SALU_CYCLE_2)
	s_trunc_f32 s27, s27
	s_wait_alu 0xfffe
	s_fmamk_f32 s2, s27, 0xcf800000, s2
	s_cvt_u32_f32 s29, s27
	s_wait_alu 0xfffe
	s_delay_alu instid0(SALU_CYCLE_1) | instskip(SKIP_1) | instid1(SALU_CYCLE_2)
	s_cvt_u32_f32 s28, s2
	s_wait_alu 0xfffe
	s_mul_u64 s[34:35], s[30:31], s[28:29]
	s_wait_alu 0xfffe
	s_mul_hi_u32 s37, s28, s35
	s_mul_i32 s36, s28, s35
	s_mul_hi_u32 s2, s28, s34
	s_mul_i32 s33, s29, s34
	s_wait_alu 0xfffe
	s_add_nc_u64 s[36:37], s[2:3], s[36:37]
	s_mul_hi_u32 s27, s29, s34
	s_mul_hi_u32 s38, s29, s35
	s_add_co_u32 s2, s36, s33
	s_wait_alu 0xfffe
	s_add_co_ci_u32 s2, s37, s27
	s_mul_i32 s34, s29, s35
	s_add_co_ci_u32 s35, s38, 0
	s_wait_alu 0xfffe
	s_add_nc_u64 s[34:35], s[2:3], s[34:35]
	s_wait_alu 0xfffe
	v_add_co_u32 v4, s2, s28, s34
	s_delay_alu instid0(VALU_DEP_1) | instskip(SKIP_1) | instid1(VALU_DEP_1)
	s_cmp_lg_u32 s2, 0
	s_add_co_ci_u32 s29, s29, s35
	v_readfirstlane_b32 s28, v4
	s_wait_alu 0xfffe
	s_delay_alu instid0(VALU_DEP_1)
	s_mul_u64 s[30:31], s[30:31], s[28:29]
	s_wait_alu 0xfffe
	s_mul_hi_u32 s35, s28, s31
	s_mul_i32 s34, s28, s31
	s_mul_hi_u32 s2, s28, s30
	s_mul_i32 s33, s29, s30
	s_wait_alu 0xfffe
	s_add_nc_u64 s[34:35], s[2:3], s[34:35]
	s_mul_hi_u32 s27, s29, s30
	s_mul_hi_u32 s28, s29, s31
	s_wait_alu 0xfffe
	s_add_co_u32 s2, s34, s33
	s_add_co_ci_u32 s2, s35, s27
	s_mul_i32 s30, s29, s31
	s_add_co_ci_u32 s31, s28, 0
	s_wait_alu 0xfffe
	s_add_nc_u64 s[30:31], s[2:3], s[30:31]
	s_wait_alu 0xfffe
	v_add_co_u32 v4, s2, v4, s30
	s_delay_alu instid0(VALU_DEP_1) | instskip(SKIP_1) | instid1(VALU_DEP_1)
	s_cmp_lg_u32 s2, 0
	s_add_co_ci_u32 s2, s29, s31
	v_mul_hi_u32 v11, v5, v4
	s_wait_alu 0xfffe
	v_mad_co_u64_u32 v[7:8], null, v5, s2, 0
	v_mad_co_u64_u32 v[9:10], null, v6, v4, 0
	;; [unrolled: 1-line block ×3, first 2 shown]
	s_delay_alu instid0(VALU_DEP_3) | instskip(SKIP_1) | instid1(VALU_DEP_4)
	v_add_co_u32 v4, vcc_lo, v11, v7
	s_wait_alu 0xfffd
	v_add_co_ci_u32_e32 v7, vcc_lo, 0, v8, vcc_lo
	s_delay_alu instid0(VALU_DEP_2) | instskip(SKIP_1) | instid1(VALU_DEP_2)
	v_add_co_u32 v4, vcc_lo, v4, v9
	s_wait_alu 0xfffd
	v_add_co_ci_u32_e32 v4, vcc_lo, v7, v10, vcc_lo
	s_wait_alu 0xfffd
	v_add_co_ci_u32_e32 v7, vcc_lo, 0, v15, vcc_lo
	s_delay_alu instid0(VALU_DEP_2) | instskip(SKIP_1) | instid1(VALU_DEP_2)
	v_add_co_u32 v4, vcc_lo, v4, v14
	s_wait_alu 0xfffd
	v_add_co_ci_u32_e32 v9, vcc_lo, 0, v7, vcc_lo
	s_delay_alu instid0(VALU_DEP_2) | instskip(SKIP_1) | instid1(VALU_DEP_3)
	v_mul_lo_u32 v10, s25, v4
	v_mad_co_u64_u32 v[7:8], null, s24, v4, 0
	v_mul_lo_u32 v11, s24, v9
	s_delay_alu instid0(VALU_DEP_2) | instskip(NEXT) | instid1(VALU_DEP_2)
	v_sub_co_u32 v7, vcc_lo, v5, v7
	v_add3_u32 v8, v8, v11, v10
	s_delay_alu instid0(VALU_DEP_1) | instskip(SKIP_1) | instid1(VALU_DEP_1)
	v_sub_nc_u32_e32 v10, v6, v8
	s_wait_alu 0xfffd
	v_subrev_co_ci_u32_e64 v10, s2, s25, v10, vcc_lo
	v_add_co_u32 v11, s2, v4, 2
	s_wait_alu 0xf1ff
	v_add_co_ci_u32_e64 v14, s2, 0, v9, s2
	v_sub_co_u32 v15, s2, v7, s24
	v_sub_co_ci_u32_e32 v8, vcc_lo, v6, v8, vcc_lo
	s_wait_alu 0xf1ff
	v_subrev_co_ci_u32_e64 v10, s2, 0, v10, s2
	s_delay_alu instid0(VALU_DEP_3) | instskip(NEXT) | instid1(VALU_DEP_3)
	v_cmp_le_u32_e32 vcc_lo, s24, v15
	v_cmp_eq_u32_e64 s2, s25, v8
	s_wait_alu 0xfffd
	v_cndmask_b32_e64 v15, 0, -1, vcc_lo
	v_cmp_le_u32_e32 vcc_lo, s25, v10
	s_wait_alu 0xfffd
	v_cndmask_b32_e64 v16, 0, -1, vcc_lo
	v_cmp_le_u32_e32 vcc_lo, s24, v7
	;; [unrolled: 3-line block ×3, first 2 shown]
	s_wait_alu 0xfffd
	v_cndmask_b32_e64 v17, 0, -1, vcc_lo
	v_cmp_eq_u32_e32 vcc_lo, s25, v10
	s_wait_alu 0xf1ff
	s_delay_alu instid0(VALU_DEP_2)
	v_cndmask_b32_e64 v7, v17, v7, s2
	s_wait_alu 0xfffd
	v_cndmask_b32_e32 v10, v16, v15, vcc_lo
	v_add_co_u32 v15, vcc_lo, v4, 1
	s_wait_alu 0xfffd
	v_add_co_ci_u32_e32 v16, vcc_lo, 0, v9, vcc_lo
	s_delay_alu instid0(VALU_DEP_3) | instskip(SKIP_1) | instid1(VALU_DEP_2)
	v_cmp_ne_u32_e32 vcc_lo, 0, v10
	s_wait_alu 0xfffd
	v_cndmask_b32_e32 v8, v16, v14, vcc_lo
	v_cndmask_b32_e32 v10, v15, v11, vcc_lo
	v_cmp_ne_u32_e32 vcc_lo, 0, v7
	s_wait_alu 0xfffd
	s_delay_alu instid0(VALU_DEP_2)
	v_dual_cndmask_b32 v15, v9, v8 :: v_dual_cndmask_b32 v14, v4, v10
.LBB0_4:                                ;   in Loop: Header=BB0_2 Depth=1
	s_wait_alu 0xfffe
	s_and_not1_saveexec_b32 s2, s26
	s_cbranch_execz .LBB0_6
; %bb.5:                                ;   in Loop: Header=BB0_2 Depth=1
	v_cvt_f32_u32_e32 v4, s24
	s_sub_co_i32 s26, 0, s24
	v_mov_b32_e32 v15, v3
	s_delay_alu instid0(VALU_DEP_2) | instskip(NEXT) | instid1(TRANS32_DEP_1)
	v_rcp_iflag_f32_e32 v4, v4
	v_mul_f32_e32 v4, 0x4f7ffffe, v4
	s_delay_alu instid0(VALU_DEP_1) | instskip(SKIP_1) | instid1(VALU_DEP_1)
	v_cvt_u32_f32_e32 v4, v4
	s_wait_alu 0xfffe
	v_mul_lo_u32 v7, s26, v4
	s_delay_alu instid0(VALU_DEP_1) | instskip(NEXT) | instid1(VALU_DEP_1)
	v_mul_hi_u32 v7, v4, v7
	v_add_nc_u32_e32 v4, v4, v7
	s_delay_alu instid0(VALU_DEP_1) | instskip(NEXT) | instid1(VALU_DEP_1)
	v_mul_hi_u32 v4, v5, v4
	v_mul_lo_u32 v7, v4, s24
	v_add_nc_u32_e32 v8, 1, v4
	s_delay_alu instid0(VALU_DEP_2) | instskip(NEXT) | instid1(VALU_DEP_1)
	v_sub_nc_u32_e32 v7, v5, v7
	v_subrev_nc_u32_e32 v9, s24, v7
	v_cmp_le_u32_e32 vcc_lo, s24, v7
	s_wait_alu 0xfffd
	s_delay_alu instid0(VALU_DEP_2) | instskip(NEXT) | instid1(VALU_DEP_1)
	v_dual_cndmask_b32 v7, v7, v9 :: v_dual_cndmask_b32 v4, v4, v8
	v_cmp_le_u32_e32 vcc_lo, s24, v7
	s_delay_alu instid0(VALU_DEP_2) | instskip(SKIP_1) | instid1(VALU_DEP_1)
	v_add_nc_u32_e32 v8, 1, v4
	s_wait_alu 0xfffd
	v_cndmask_b32_e32 v14, v4, v8, vcc_lo
.LBB0_6:                                ;   in Loop: Header=BB0_2 Depth=1
	s_wait_alu 0xfffe
	s_or_b32 exec_lo, exec_lo, s2
	v_mul_lo_u32 v4, v15, s24
	s_delay_alu instid0(VALU_DEP_2)
	v_mul_lo_u32 v9, v14, s25
	s_load_b64 s[26:27], s[18:19], 0x0
	v_mad_co_u64_u32 v[7:8], null, v14, s24, 0
	s_load_b64 s[24:25], s[16:17], 0x0
	s_add_nc_u64 s[20:21], s[20:21], 1
	s_add_nc_u64 s[16:17], s[16:17], 8
	s_wait_alu 0xfffe
	v_cmp_ge_u64_e64 s2, s[20:21], s[10:11]
	s_add_nc_u64 s[18:19], s[18:19], 8
	s_add_nc_u64 s[22:23], s[22:23], 8
	v_add3_u32 v4, v8, v9, v4
	v_sub_co_u32 v5, vcc_lo, v5, v7
	s_wait_alu 0xfffd
	s_delay_alu instid0(VALU_DEP_2) | instskip(SKIP_2) | instid1(VALU_DEP_1)
	v_sub_co_ci_u32_e32 v4, vcc_lo, v6, v4, vcc_lo
	s_and_b32 vcc_lo, exec_lo, s2
	s_wait_kmcnt 0x0
	v_mul_lo_u32 v6, s26, v4
	v_mul_lo_u32 v7, s27, v5
	v_mad_co_u64_u32 v[1:2], null, s26, v5, v[1:2]
	v_mul_lo_u32 v4, s24, v4
	v_mul_lo_u32 v8, s25, v5
	v_mad_co_u64_u32 v[12:13], null, s24, v5, v[12:13]
	s_delay_alu instid0(VALU_DEP_4) | instskip(NEXT) | instid1(VALU_DEP_2)
	v_add3_u32 v2, v7, v2, v6
	v_add3_u32 v13, v8, v13, v4
	s_wait_alu 0xfffe
	s_cbranch_vccnz .LBB0_9
; %bb.7:                                ;   in Loop: Header=BB0_2 Depth=1
	v_dual_mov_b32 v5, v14 :: v_dual_mov_b32 v6, v15
	s_branch .LBB0_2
.LBB0_8:
	v_dual_mov_b32 v13, v2 :: v_dual_mov_b32 v12, v1
	v_dual_mov_b32 v15, v6 :: v_dual_mov_b32 v14, v5
.LBB0_9:
	s_load_b64 s[0:1], s[0:1], 0x28
	v_mul_hi_u32 v3, 0x124924a, v0
	s_lshl_b64 s[10:11], s[10:11], 3
                                        ; implicit-def: $vgpr16
	s_wait_alu 0xfffe
	s_add_nc_u64 s[2:3], s[14:15], s[10:11]
	s_wait_kmcnt 0x0
	v_cmp_gt_u64_e32 vcc_lo, s[0:1], v[14:15]
	v_cmp_le_u64_e64 s0, s[0:1], v[14:15]
	s_delay_alu instid0(VALU_DEP_1)
	s_and_saveexec_b32 s1, s0
	s_wait_alu 0xfffe
	s_xor_b32 s0, exec_lo, s1
; %bb.10:
	v_mul_u32_u24_e32 v1, 0xe0, v3
                                        ; implicit-def: $vgpr3
	s_delay_alu instid0(VALU_DEP_1)
	v_sub_nc_u32_e32 v16, v0, v1
                                        ; implicit-def: $vgpr0
                                        ; implicit-def: $vgpr1_vgpr2
; %bb.11:
	s_wait_alu 0xfffe
	s_or_saveexec_b32 s1, s0
	s_load_b64 s[2:3], s[2:3], 0x0
	s_xor_b32 exec_lo, exec_lo, s1
	s_cbranch_execz .LBB0_15
; %bb.12:
	s_add_nc_u64 s[10:11], s[12:13], s[10:11]
	v_lshlrev_b64_e32 v[1:2], 3, v[1:2]
	s_load_b64 s[10:11], s[10:11], 0x0
	s_wait_kmcnt 0x0
	v_mul_lo_u32 v6, s11, v14
	v_mul_lo_u32 v7, s10, v15
	v_mad_co_u64_u32 v[4:5], null, s10, v14, 0
	s_delay_alu instid0(VALU_DEP_1) | instskip(SKIP_1) | instid1(VALU_DEP_2)
	v_add3_u32 v5, v5, v7, v6
	v_mul_u32_u24_e32 v6, 0xe0, v3
	v_lshlrev_b64_e32 v[3:4], 3, v[4:5]
	s_delay_alu instid0(VALU_DEP_2) | instskip(NEXT) | instid1(VALU_DEP_1)
	v_sub_nc_u32_e32 v16, v0, v6
	v_lshlrev_b32_e32 v19, 3, v16
	s_delay_alu instid0(VALU_DEP_3) | instskip(SKIP_1) | instid1(VALU_DEP_4)
	v_add_co_u32 v0, s0, s4, v3
	s_wait_alu 0xf1ff
	v_add_co_ci_u32_e64 v3, s0, s5, v4, s0
	s_mov_b32 s4, exec_lo
	s_delay_alu instid0(VALU_DEP_2) | instskip(SKIP_1) | instid1(VALU_DEP_2)
	v_add_co_u32 v0, s0, v0, v1
	s_wait_alu 0xf1ff
	v_add_co_ci_u32_e64 v1, s0, v3, v2, s0
	s_delay_alu instid0(VALU_DEP_2) | instskip(SKIP_1) | instid1(VALU_DEP_2)
	v_add_co_u32 v2, s0, v0, v19
	s_wait_alu 0xf1ff
	v_add_co_ci_u32_e64 v3, s0, 0, v1, s0
	s_clause 0x5
	global_load_b64 v[4:5], v[2:3], off
	global_load_b64 v[6:7], v[2:3], off offset:1792
	global_load_b64 v[8:9], v[2:3], off offset:3584
	;; [unrolled: 1-line block ×5, first 2 shown]
	v_add_nc_u32_e32 v19, 0, v19
	s_delay_alu instid0(VALU_DEP_1)
	v_add_nc_u32_e32 v20, 0xe00, v19
	v_add_nc_u32_e32 v21, 0x1c00, v19
	s_wait_loadcnt 0x4
	ds_store_2addr_b64 v19, v[4:5], v[6:7] offset1:224
	s_wait_loadcnt 0x2
	ds_store_2addr_b64 v20, v[8:9], v[10:11] offset1:224
	;; [unrolled: 2-line block ×3, first 2 shown]
	v_cmpx_eq_u32_e32 0xdf, v16
	s_cbranch_execz .LBB0_14
; %bb.13:
	global_load_b64 v[0:1], v[0:1], off offset:10752
	v_mov_b32_e32 v2, 0
	v_mov_b32_e32 v16, 0xdf
	s_wait_loadcnt 0x0
	ds_store_b64 v2, v[0:1] offset:10752
.LBB0_14:
	s_wait_alu 0xfffe
	s_or_b32 exec_lo, exec_lo, s4
.LBB0_15:
	s_delay_alu instid0(SALU_CYCLE_1)
	s_or_b32 exec_lo, exec_lo, s1
	v_lshlrev_b32_e32 v0, 3, v16
	global_wb scope:SCOPE_SE
	s_wait_dscnt 0x0
	s_wait_kmcnt 0x0
	s_barrier_signal -1
	s_barrier_wait -1
	global_inv scope:SCOPE_SE
	v_add_nc_u32_e32 v19, 0, v0
	v_sub_nc_u32_e32 v4, 0, v0
	s_mov_b32 s1, exec_lo
                                        ; implicit-def: $vgpr2_vgpr3
	ds_load_b32 v5, v19
	ds_load_b32 v6, v4 offset:10752
	s_wait_dscnt 0x0
	v_dual_add_f32 v0, v6, v5 :: v_dual_sub_f32 v1, v5, v6
	v_cmpx_ne_u32_e32 0, v16
	s_wait_alu 0xfffe
	s_xor_b32 s1, exec_lo, s1
	s_cbranch_execz .LBB0_17
; %bb.16:
	v_dual_mov_b32 v17, 0 :: v_dual_sub_f32 v8, v5, v6
	s_delay_alu instid0(VALU_DEP_1) | instskip(NEXT) | instid1(VALU_DEP_1)
	v_lshlrev_b64_e32 v[0:1], 3, v[16:17]
	v_add_co_u32 v0, s0, s8, v0
	s_wait_alu 0xf1ff
	s_delay_alu instid0(VALU_DEP_2)
	v_add_co_ci_u32_e64 v1, s0, s9, v1, s0
	global_load_b64 v[2:3], v[0:1], off offset:10736
	ds_load_b32 v0, v4 offset:10756
	ds_load_b32 v1, v19 offset:4
	v_add_f32_e32 v7, v6, v5
	s_wait_dscnt 0x0
	v_dual_add_f32 v9, v0, v1 :: v_dual_sub_f32 v0, v1, v0
	s_wait_loadcnt 0x0
	s_delay_alu instid0(VALU_DEP_2) | instskip(NEXT) | instid1(VALU_DEP_2)
	v_fma_f32 v5, -v8, v3, v7
	v_fma_f32 v6, v9, v3, -v0
	v_fma_f32 v10, v8, v3, v7
	v_fma_f32 v1, v9, v3, v0
	s_delay_alu instid0(VALU_DEP_3) | instskip(NEXT) | instid1(VALU_DEP_3)
	v_dual_fmac_f32 v5, v2, v9 :: v_dual_fmac_f32 v6, v8, v2
	v_fma_f32 v0, -v2, v9, v10
	s_delay_alu instid0(VALU_DEP_3)
	v_fmac_f32_e32 v1, v8, v2
	v_dual_mov_b32 v2, v16 :: v_dual_mov_b32 v3, v17
	ds_store_b64 v4, v[5:6] offset:10752
.LBB0_17:
	s_wait_alu 0xfffe
	s_and_not1_saveexec_b32 s0, s1
	s_cbranch_execz .LBB0_19
; %bb.18:
	v_mov_b32_e32 v7, 0
	ds_load_b64 v[2:3], v7 offset:5376
	s_wait_dscnt 0x0
	v_dual_mul_f32 v6, -2.0, v3 :: v_dual_add_f32 v5, v2, v2
	v_mov_b32_e32 v2, 0
	v_mov_b32_e32 v3, 0
	ds_store_b64 v7, v[5:6] offset:5376
.LBB0_19:
	s_wait_alu 0xfffe
	s_or_b32 exec_lo, exec_lo, s0
	v_lshlrev_b64_e32 v[2:3], 3, v[2:3]
	s_add_nc_u64 s[0:1], s[8:9], 0x29f0
	v_lshl_add_u32 v25, v16, 3, v19
	v_and_b32_e32 v24, 1, v16
	s_wait_alu 0xfffe
	s_delay_alu instid0(VALU_DEP_3)
	v_add_co_u32 v2, s0, s0, v2
	s_wait_alu 0xf1ff
	v_add_co_ci_u32_e64 v3, s0, s1, v3, s0
	s_clause 0x1
	global_load_b64 v[5:6], v[2:3], off offset:1792
	global_load_b64 v[2:3], v[2:3], off offset:3584
	ds_store_b64 v19, v[0:1]
	ds_load_b64 v[0:1], v19 offset:1792
	ds_load_b64 v[7:8], v4 offset:8960
	v_cmp_gt_u32_e64 s0, 0xc0, v16
	s_wait_dscnt 0x0
	v_add_f32_e32 v9, v0, v7
	v_add_f32_e32 v10, v8, v1
	v_dual_sub_f32 v11, v0, v7 :: v_dual_sub_f32 v0, v1, v8
	s_wait_loadcnt 0x1
	s_delay_alu instid0(VALU_DEP_1) | instskip(NEXT) | instid1(VALU_DEP_2)
	v_fma_f32 v17, v11, v6, v9
	v_fma_f32 v1, v10, v6, v0
	v_fma_f32 v7, -v11, v6, v9
	v_fma_f32 v8, v10, v6, -v0
	s_delay_alu instid0(VALU_DEP_4) | instskip(NEXT) | instid1(VALU_DEP_4)
	v_fma_f32 v0, -v5, v10, v17
	v_fmac_f32_e32 v1, v11, v5
	s_delay_alu instid0(VALU_DEP_3)
	v_dual_fmac_f32 v7, v5, v10 :: v_dual_fmac_f32 v8, v11, v5
	ds_store_b64 v19, v[0:1] offset:1792
	ds_store_b64 v4, v[7:8] offset:8960
	ds_load_b64 v[0:1], v19 offset:3584
	ds_load_b64 v[5:6], v4 offset:7168
	s_wait_dscnt 0x0
	v_add_f32_e32 v7, v0, v5
	v_sub_f32_e32 v0, v0, v5
	v_add_f32_e32 v9, v6, v1
	v_sub_f32_e32 v1, v1, v6
	s_wait_loadcnt 0x0
	s_delay_alu instid0(VALU_DEP_1) | instskip(NEXT) | instid1(VALU_DEP_1)
	v_fma_f32 v8, v9, v3, -v1
	v_fmac_f32_e32 v8, v0, v2
	v_fma_f32 v6, v9, v3, v1
	v_add_nc_u32_e32 v1, 0x1c00, v19
	v_fma_f32 v5, v0, v3, v7
	v_fma_f32 v7, -v0, v3, v7
	s_delay_alu instid0(VALU_DEP_4) | instskip(SKIP_1) | instid1(VALU_DEP_4)
	v_fmac_f32_e32 v6, v0, v2
	v_add_nc_u32_e32 v0, 0xe00, v19
	v_fma_f32 v5, -v2, v9, v5
	s_delay_alu instid0(VALU_DEP_4)
	v_fmac_f32_e32 v7, v2, v9
	ds_store_b64 v19, v[5:6] offset:3584
	ds_store_b64 v4, v[7:8] offset:7168
	global_wb scope:SCOPE_SE
	s_wait_dscnt 0x0
	s_barrier_signal -1
	s_barrier_wait -1
	global_inv scope:SCOPE_SE
	global_wb scope:SCOPE_SE
	s_barrier_signal -1
	s_barrier_wait -1
	global_inv scope:SCOPE_SE
	ds_load_2addr_b64 v[3:6], v19 offset1:224
	ds_load_2addr_b64 v[7:10], v0 offset1:224
	;; [unrolled: 1-line block ×3, first 2 shown]
	v_add_nc_u32_e32 v11, 0x1c0, v16
	v_lshlrev_b32_e32 v28, 3, v24
	v_add_nc_u32_e32 v2, 0xe0, v16
	global_wb scope:SCOPE_SE
	s_wait_dscnt 0x0
	s_barrier_signal -1
	s_barrier_wait -1
	global_inv scope:SCOPE_SE
	v_lshl_add_u32 v26, v2, 4, 0
	v_dual_sub_f32 v9, v3, v9 :: v_dual_sub_f32 v10, v4, v10
	v_dual_sub_f32 v17, v5, v20 :: v_dual_sub_f32 v18, v6, v21
	;; [unrolled: 1-line block ×3, first 2 shown]
	s_delay_alu instid0(VALU_DEP_3) | instskip(NEXT) | instid1(VALU_DEP_4)
	v_fma_f32 v3, v3, 2.0, -v9
	v_fma_f32 v4, v4, 2.0, -v10
	s_delay_alu instid0(VALU_DEP_4)
	v_fma_f32 v5, v5, 2.0, -v17
	v_fma_f32 v6, v6, 2.0, -v18
	v_lshl_add_u32 v27, v11, 4, 0
	v_fma_f32 v7, v7, 2.0, -v20
	v_fma_f32 v8, v8, 2.0, -v21
	ds_store_2addr_b64 v25, v[3:4], v[9:10] offset1:1
	ds_store_2addr_b64 v26, v[5:6], v[17:18] offset1:1
	ds_store_2addr_b64 v27, v[7:8], v[20:21] offset1:1
	global_wb scope:SCOPE_SE
	s_wait_dscnt 0x0
	s_barrier_signal -1
	s_barrier_wait -1
	global_inv scope:SCOPE_SE
	global_load_b64 v[9:10], v28, s[8:9]
	v_add_nc_u32_e32 v26, 0x1500, v19
	ds_load_b64 v[17:18], v19 offset:8960
	v_lshlrev_b32_e32 v4, 1, v16
	v_lshlrev_b32_e32 v11, 1, v11
	ds_load_2addr_b64 v[20:23], v19 offset1:224
	ds_load_2addr_b64 v[5:8], v26 offset1:224
	v_lshlrev_b32_e32 v3, 1, v2
	s_wait_loadcnt_dscnt 0x0
	v_dual_mul_f32 v36, v10, v7 :: v_dual_and_b32 v27, 3, v16
	v_mul_f32_e32 v37, v10, v18
	v_and_or_b32 v25, 0x1fc, v4, v24
	v_mul_f32_e32 v33, v10, v6
	v_mul_f32_e32 v34, v10, v5
	v_and_or_b32 v28, 0x3fc, v3, v24
	v_mul_f32_e32 v35, v10, v8
	v_lshl_add_u32 v31, v25, 3, 0
	v_mul_f32_e32 v10, v10, v17
	v_and_or_b32 v30, 0x7fc, v11, v24
	ds_load_b32 v32, v19 offset:3588
	ds_load_b64 v[24:25], v19 offset:3584
	v_fma_f32 v6, v9, v6, -v34
	v_fma_f32 v8, v9, v8, -v36
	;; [unrolled: 1-line block ×3, first 2 shown]
	v_fmac_f32_e32 v33, v9, v5
	v_fmac_f32_e32 v37, v9, v17
	v_dual_sub_f32 v6, v21, v6 :: v_dual_lshlrev_b32 v29, 3, v27
	s_delay_alu instid0(VALU_DEP_3) | instskip(SKIP_2) | instid1(VALU_DEP_4)
	v_dual_sub_f32 v8, v23, v8 :: v_dual_sub_f32 v5, v20, v33
	v_lshl_add_u32 v28, v28, 3, 0
	v_lshl_add_u32 v30, v30, 3, 0
	v_fma_f32 v18, v21, 2.0, -v6
	s_delay_alu instid0(VALU_DEP_4)
	v_fma_f32 v21, v23, 2.0, -v8
	v_fma_f32 v17, v20, 2.0, -v5
	global_wb scope:SCOPE_SE
	s_wait_dscnt 0x0
	s_barrier_signal -1
	s_barrier_wait -1
	global_inv scope:SCOPE_SE
	v_sub_f32_e32 v10, v25, v10
	v_fmac_f32_e32 v35, v9, v7
	v_sub_f32_e32 v9, v24, v37
	v_and_or_b32 v25, 0x3f8, v3, v27
	s_delay_alu instid0(VALU_DEP_4) | instskip(NEXT) | instid1(VALU_DEP_4)
	v_fma_f32 v23, v32, 2.0, -v10
	v_sub_f32_e32 v7, v22, v35
	s_delay_alu instid0(VALU_DEP_1)
	v_fma_f32 v20, v22, 2.0, -v7
	v_fma_f32 v22, v24, 2.0, -v9
	ds_store_2addr_b64 v31, v[17:18], v[5:6] offset1:2
	ds_store_2addr_b64 v28, v[20:21], v[7:8] offset1:2
	;; [unrolled: 1-line block ×3, first 2 shown]
	global_wb scope:SCOPE_SE
	s_wait_dscnt 0x0
	s_barrier_signal -1
	s_barrier_wait -1
	global_inv scope:SCOPE_SE
	global_load_b64 v[9:10], v29, s[8:9] offset:16
	ds_load_2addr_b64 v[5:8], v26 offset1:224
	ds_load_b64 v[17:18], v19 offset:8960
	v_and_or_b32 v24, 0x1f8, v4, v27
	ds_load_2addr_b64 v[20:23], v19 offset1:224
	v_lshl_add_u32 v31, v25, 3, 0
	v_and_b32_e32 v28, 7, v16
	v_and_or_b32 v27, 0x7f8, v11, v27
	v_lshl_add_u32 v30, v24, 3, 0
	ds_load_b32 v32, v19 offset:3588
	ds_load_b64 v[24:25], v19 offset:3584
	global_wb scope:SCOPE_SE
	s_wait_loadcnt_dscnt 0x0
	v_lshlrev_b32_e32 v29, 3, v28
	v_lshl_add_u32 v27, v27, 3, 0
	s_barrier_signal -1
	s_barrier_wait -1
	global_inv scope:SCOPE_SE
	v_mul_f32_e32 v34, v10, v5
	v_mul_f32_e32 v33, v10, v6
	;; [unrolled: 1-line block ×6, first 2 shown]
	v_fmac_f32_e32 v33, v9, v5
	v_fma_f32 v6, v9, v6, -v34
	v_fmac_f32_e32 v35, v9, v7
	v_fma_f32 v8, v9, v8, -v36
	;; [unrolled: 2-line block ×3, first 2 shown]
	v_dual_sub_f32 v5, v20, v33 :: v_dual_sub_f32 v6, v21, v6
	s_delay_alu instid0(VALU_DEP_4) | instskip(NEXT) | instid1(VALU_DEP_3)
	v_dual_sub_f32 v7, v22, v35 :: v_dual_sub_f32 v8, v23, v8
	v_dual_sub_f32 v9, v24, v37 :: v_dual_sub_f32 v10, v25, v10
	s_delay_alu instid0(VALU_DEP_3) | instskip(NEXT) | instid1(VALU_DEP_4)
	v_fma_f32 v17, v20, 2.0, -v5
	v_fma_f32 v18, v21, 2.0, -v6
	s_delay_alu instid0(VALU_DEP_4)
	v_fma_f32 v20, v22, 2.0, -v7
	v_fma_f32 v21, v23, 2.0, -v8
	;; [unrolled: 1-line block ×4, first 2 shown]
	ds_store_2addr_b64 v30, v[17:18], v[5:6] offset1:4
	ds_store_2addr_b64 v31, v[20:21], v[7:8] offset1:4
	;; [unrolled: 1-line block ×3, first 2 shown]
	global_wb scope:SCOPE_SE
	s_wait_dscnt 0x0
	s_barrier_signal -1
	s_barrier_wait -1
	global_inv scope:SCOPE_SE
	global_load_b64 v[9:10], v29, s[8:9] offset:48
	ds_load_2addr_b64 v[5:8], v26 offset1:224
	ds_load_b64 v[17:18], v19 offset:8960
	v_and_or_b32 v24, 0x1f0, v4, v28
	v_and_or_b32 v25, 0x3f0, v3, v28
	ds_load_2addr_b64 v[20:23], v19 offset1:224
	v_and_b32_e32 v27, 15, v16
	v_and_or_b32 v28, 0x7f0, v11, v28
	v_lshl_add_u32 v30, v24, 3, 0
	v_lshl_add_u32 v31, v25, 3, 0
	ds_load_b32 v32, v19 offset:3588
	ds_load_b64 v[24:25], v19 offset:3584
	global_wb scope:SCOPE_SE
	s_wait_loadcnt_dscnt 0x0
	v_lshl_add_u32 v28, v28, 3, 0
	s_barrier_signal -1
	s_barrier_wait -1
	global_inv scope:SCOPE_SE
	v_mul_f32_e32 v34, v10, v5
	v_mul_f32_e32 v33, v10, v6
	;; [unrolled: 1-line block ×4, first 2 shown]
	v_lshlrev_b32_e32 v29, 3, v27
	v_mul_f32_e32 v37, v10, v18
	v_mul_f32_e32 v10, v10, v17
	v_fmac_f32_e32 v33, v9, v5
	v_fma_f32 v6, v9, v6, -v34
	v_fmac_f32_e32 v35, v9, v7
	v_fma_f32 v8, v9, v8, -v36
	;; [unrolled: 2-line block ×3, first 2 shown]
	v_dual_sub_f32 v5, v20, v33 :: v_dual_sub_f32 v6, v21, v6
	s_delay_alu instid0(VALU_DEP_4) | instskip(NEXT) | instid1(VALU_DEP_3)
	v_dual_sub_f32 v7, v22, v35 :: v_dual_sub_f32 v8, v23, v8
	v_dual_sub_f32 v9, v24, v37 :: v_dual_sub_f32 v10, v25, v10
	s_delay_alu instid0(VALU_DEP_3) | instskip(NEXT) | instid1(VALU_DEP_4)
	v_fma_f32 v17, v20, 2.0, -v5
	v_fma_f32 v18, v21, 2.0, -v6
	s_delay_alu instid0(VALU_DEP_4)
	v_fma_f32 v20, v22, 2.0, -v7
	v_fma_f32 v21, v23, 2.0, -v8
	v_fma_f32 v22, v24, 2.0, -v9
	v_fma_f32 v23, v32, 2.0, -v10
	ds_store_2addr_b64 v30, v[17:18], v[5:6] offset1:8
	ds_store_2addr_b64 v31, v[20:21], v[7:8] offset1:8
	ds_store_2addr_b64 v28, v[22:23], v[9:10] offset1:8
	global_wb scope:SCOPE_SE
	s_wait_dscnt 0x0
	s_barrier_signal -1
	s_barrier_wait -1
	global_inv scope:SCOPE_SE
	global_load_b64 v[9:10], v29, s[8:9] offset:112
	ds_load_2addr_b64 v[5:8], v26 offset1:224
	ds_load_b64 v[17:18], v19 offset:8960
	v_and_or_b32 v24, 0x1e0, v4, v27
	v_and_or_b32 v25, 0x3e0, v3, v27
	ds_load_2addr_b64 v[20:23], v19 offset1:224
	v_and_b32_e32 v28, 31, v16
	v_and_or_b32 v27, 0x7e0, v11, v27
	v_lshl_add_u32 v30, v24, 3, 0
	v_lshl_add_u32 v31, v25, 3, 0
	ds_load_b32 v32, v19 offset:3588
	ds_load_b64 v[24:25], v19 offset:3584
	v_lshlrev_b32_e32 v29, 3, v28
	v_lshl_add_u32 v27, v27, 3, 0
	global_wb scope:SCOPE_SE
	s_wait_loadcnt_dscnt 0x0
	s_barrier_signal -1
	s_barrier_wait -1
	global_inv scope:SCOPE_SE
	v_and_or_b32 v4, 0x1c0, v4, v28
	v_and_or_b32 v3, 0x3c0, v3, v28
	;; [unrolled: 1-line block ×3, first 2 shown]
	s_delay_alu instid0(VALU_DEP_1)
	v_lshl_add_u32 v11, v11, 3, 0
	v_mul_f32_e32 v33, v10, v6
	v_mul_f32_e32 v34, v10, v5
	;; [unrolled: 1-line block ×6, first 2 shown]
	v_fmac_f32_e32 v33, v9, v5
	v_fma_f32 v6, v9, v6, -v34
	v_fmac_f32_e32 v35, v9, v7
	v_fma_f32 v8, v9, v8, -v36
	;; [unrolled: 2-line block ×3, first 2 shown]
	v_dual_sub_f32 v5, v20, v33 :: v_dual_sub_f32 v6, v21, v6
	s_delay_alu instid0(VALU_DEP_4) | instskip(NEXT) | instid1(VALU_DEP_3)
	v_dual_sub_f32 v7, v22, v35 :: v_dual_sub_f32 v8, v23, v8
	v_dual_sub_f32 v9, v24, v37 :: v_dual_sub_f32 v10, v25, v10
	s_delay_alu instid0(VALU_DEP_3) | instskip(NEXT) | instid1(VALU_DEP_4)
	v_fma_f32 v17, v20, 2.0, -v5
	v_fma_f32 v18, v21, 2.0, -v6
	s_delay_alu instid0(VALU_DEP_4)
	v_fma_f32 v20, v22, 2.0, -v7
	v_fma_f32 v21, v23, 2.0, -v8
	;; [unrolled: 1-line block ×4, first 2 shown]
	ds_store_2addr_b64 v30, v[17:18], v[5:6] offset1:16
	ds_store_2addr_b64 v31, v[20:21], v[7:8] offset1:16
	;; [unrolled: 1-line block ×3, first 2 shown]
	global_wb scope:SCOPE_SE
	s_wait_dscnt 0x0
	s_barrier_signal -1
	s_barrier_wait -1
	global_inv scope:SCOPE_SE
	global_load_b64 v[9:10], v29, s[8:9] offset:240
	ds_load_2addr_b64 v[5:8], v26 offset1:224
	ds_load_b64 v[17:18], v19 offset:8960
	ds_load_2addr_b64 v[20:23], v19 offset1:224
	v_lshl_add_u32 v25, v4, 3, 0
	v_lshl_add_u32 v27, v3, 3, 0
	ds_load_b32 v28, v19 offset:3588
	ds_load_b64 v[3:4], v19 offset:3584
	v_and_b32_e32 v29, 63, v16
	v_and_b32_e32 v30, 63, v2
	global_wb scope:SCOPE_SE
	s_wait_loadcnt_dscnt 0x0
	s_barrier_signal -1
	s_barrier_wait -1
	global_inv scope:SCOPE_SE
	v_lshlrev_b32_e32 v26, 4, v30
	v_mul_f32_e32 v31, v10, v6
	v_mul_f32_e32 v32, v10, v5
	;; [unrolled: 1-line block ×6, first 2 shown]
	v_fmac_f32_e32 v31, v9, v5
	v_fma_f32 v6, v9, v6, -v32
	v_fmac_f32_e32 v33, v9, v7
	v_fma_f32 v8, v9, v8, -v34
	;; [unrolled: 2-line block ×3, first 2 shown]
	v_dual_sub_f32 v5, v20, v31 :: v_dual_sub_f32 v6, v21, v6
	s_delay_alu instid0(VALU_DEP_4) | instskip(NEXT) | instid1(VALU_DEP_3)
	v_dual_sub_f32 v7, v22, v33 :: v_dual_sub_f32 v8, v23, v8
	v_dual_sub_f32 v9, v3, v35 :: v_dual_sub_f32 v10, v4, v10
	v_lshlrev_b32_e32 v24, 4, v29
	s_delay_alu instid0(VALU_DEP_4)
	v_fma_f32 v17, v20, 2.0, -v5
	v_fma_f32 v18, v21, 2.0, -v6
	;; [unrolled: 1-line block ×6, first 2 shown]
	ds_store_2addr_b64 v25, v[17:18], v[5:6] offset1:32
	ds_store_2addr_b64 v27, v[20:21], v[7:8] offset1:32
	;; [unrolled: 1-line block ×3, first 2 shown]
	global_wb scope:SCOPE_SE
	s_wait_dscnt 0x0
	s_barrier_signal -1
	s_barrier_wait -1
	global_inv scope:SCOPE_SE
	s_clause 0x1
	global_load_b128 v[8:11], v24, s[8:9] offset:496
	global_load_b128 v[20:23], v26, s[8:9] offset:496
	v_lshrrev_b32_e32 v4, 6, v16
	v_lshrrev_b32_e32 v5, 6, v2
	ds_load_2addr_b64 v[24:27], v0 offset1:224
	ds_load_2addr_b64 v[0:3], v1 offset1:224
	v_mul_u32_u24_e32 v4, 0xc0, v4
	v_mul_u32_u24_e32 v5, 0xc0, v5
	s_delay_alu instid0(VALU_DEP_2) | instskip(NEXT) | instid1(VALU_DEP_2)
	v_or_b32_e32 v4, v4, v29
	v_or_b32_e32 v5, v5, v30
	s_delay_alu instid0(VALU_DEP_2) | instskip(NEXT) | instid1(VALU_DEP_2)
	v_lshl_add_u32 v17, v4, 3, 0
	v_lshl_add_u32 v18, v5, 3, 0
	ds_load_2addr_b64 v[4:7], v19 offset1:224
	global_wb scope:SCOPE_SE
	s_wait_loadcnt_dscnt 0x0
	s_barrier_signal -1
	s_barrier_wait -1
	global_inv scope:SCOPE_SE
	v_mul_f32_e32 v28, v9, v25
	v_mul_f32_e32 v9, v9, v24
	;; [unrolled: 1-line block ×3, first 2 shown]
	v_dual_mul_f32 v11, v11, v0 :: v_dual_mul_f32 v30, v21, v27
	v_mul_f32_e32 v21, v21, v26
	v_mul_f32_e32 v31, v23, v3
	v_dual_mul_f32 v23, v23, v2 :: v_dual_fmac_f32 v28, v8, v24
	v_fma_f32 v8, v8, v25, -v9
	v_fmac_f32_e32 v29, v10, v0
	v_fma_f32 v1, v10, v1, -v11
	v_fmac_f32_e32 v30, v20, v26
	;; [unrolled: 2-line block ×3, first 2 shown]
	v_fma_f32 v2, v22, v3, -v23
	v_add_f32_e32 v9, v28, v29
	v_add_f32_e32 v11, v8, v1
	;; [unrolled: 1-line block ×3, first 2 shown]
	s_delay_alu instid0(VALU_DEP_4)
	v_dual_add_f32 v23, v30, v31 :: v_dual_add_f32 v26, v0, v2
	v_sub_f32_e32 v20, v8, v1
	v_add_f32_e32 v10, v8, v5
	v_dual_sub_f32 v21, v28, v29 :: v_dual_add_f32 v22, v6, v30
	v_dual_sub_f32 v24, v0, v2 :: v_dual_add_f32 v25, v7, v0
	v_sub_f32_e32 v27, v30, v31
	v_fma_f32 v8, -0.5, v9, v4
	v_fma_f32 v9, -0.5, v11, v5
	;; [unrolled: 1-line block ×3, first 2 shown]
	v_dual_fmac_f32 v7, -0.5, v26 :: v_dual_add_f32 v0, v3, v29
	v_add_f32_e32 v1, v10, v1
	v_dual_add_f32 v10, v22, v31 :: v_dual_add_f32 v11, v25, v2
	v_fmamk_f32 v2, v20, 0xbf5db3d7, v8
	v_dual_fmac_f32 v8, 0x3f5db3d7, v20 :: v_dual_fmamk_f32 v3, v21, 0x3f5db3d7, v9
	v_dual_fmac_f32 v9, 0xbf5db3d7, v21 :: v_dual_fmamk_f32 v4, v24, 0xbf5db3d7, v6
	v_dual_fmac_f32 v6, 0x3f5db3d7, v24 :: v_dual_fmamk_f32 v5, v27, 0x3f5db3d7, v7
	v_fmac_f32_e32 v7, 0xbf5db3d7, v27
	ds_store_2addr_stride64_b64 v17, v[0:1], v[2:3] offset1:1
	ds_store_b64 v17, v[8:9] offset:1024
	ds_store_2addr_stride64_b64 v18, v[10:11], v[4:5] offset1:1
	ds_store_b64 v18, v[6:7] offset:1024
	global_wb scope:SCOPE_SE
	s_wait_dscnt 0x0
	s_barrier_signal -1
	s_barrier_wait -1
	global_inv scope:SCOPE_SE
                                        ; implicit-def: $vgpr18
	s_and_saveexec_b32 s1, s0
	s_cbranch_execz .LBB0_21
; %bb.20:
	ds_load_2addr_stride64_b64 v[0:3], v19 offset1:3
	ds_load_2addr_stride64_b64 v[8:11], v19 offset0:6 offset1:9
	ds_load_2addr_stride64_b64 v[4:7], v19 offset0:12 offset1:15
	ds_load_b64 v[17:18], v19 offset:9216
.LBB0_21:
	s_wait_alu 0xfffe
	s_or_b32 exec_lo, exec_lo, s1
	global_wb scope:SCOPE_SE
	s_wait_dscnt 0x0
	s_barrier_signal -1
	s_barrier_wait -1
	global_inv scope:SCOPE_SE
	s_and_saveexec_b32 s1, s0
	s_cbranch_execz .LBB0_23
; %bb.22:
	v_dual_mov_b32 v21, 0 :: v_dual_add_nc_u32 v20, 0xffffff40, v16
	s_delay_alu instid0(VALU_DEP_1) | instskip(NEXT) | instid1(VALU_DEP_1)
	v_cndmask_b32_e64 v20, v20, v16, s0
	v_mul_i32_i24_e32 v20, 6, v20
	s_delay_alu instid0(VALU_DEP_1) | instskip(NEXT) | instid1(VALU_DEP_1)
	v_lshlrev_b64_e32 v[20:21], 3, v[20:21]
	v_add_co_u32 v28, s0, s8, v20
	s_wait_alu 0xf1ff
	s_delay_alu instid0(VALU_DEP_2)
	v_add_co_ci_u32_e64 v29, s0, s9, v21, s0
	s_clause 0x2
	global_load_b128 v[20:23], v[28:29], off offset:1520
	global_load_b128 v[24:27], v[28:29], off offset:1552
	;; [unrolled: 1-line block ×3, first 2 shown]
	s_wait_loadcnt 0x1
	v_dual_mul_f32 v32, v3, v21 :: v_dual_mul_f32 v33, v18, v27
	s_wait_loadcnt 0x0
	v_dual_mul_f32 v34, v5, v31 :: v_dual_mul_f32 v35, v11, v29
	s_delay_alu instid0(VALU_DEP_2) | instskip(NEXT) | instid1(VALU_DEP_2)
	v_dual_mul_f32 v27, v17, v27 :: v_dual_fmac_f32 v32, v2, v20
	v_dual_mul_f32 v21, v2, v21 :: v_dual_fmac_f32 v34, v4, v30
	v_dual_mul_f32 v36, v9, v23 :: v_dual_mul_f32 v37, v7, v25
	s_delay_alu instid0(VALU_DEP_3) | instskip(NEXT) | instid1(VALU_DEP_3)
	v_fma_f32 v2, v18, v26, -v27
	v_fma_f32 v3, v3, v20, -v21
	v_mul_f32_e32 v25, v6, v25
	s_delay_alu instid0(VALU_DEP_4) | instskip(SKIP_2) | instid1(VALU_DEP_4)
	v_dual_mul_f32 v29, v10, v29 :: v_dual_fmac_f32 v36, v8, v22
	v_fmac_f32_e32 v37, v6, v24
	v_fmac_f32_e32 v33, v17, v26
	v_fma_f32 v6, v7, v24, -v25
	v_mul_f32_e32 v23, v8, v23
	s_delay_alu instid0(VALU_DEP_4) | instskip(NEXT) | instid1(VALU_DEP_4)
	v_dual_fmac_f32 v35, v10, v28 :: v_dual_sub_f32 v10, v36, v37
	v_sub_f32_e32 v8, v32, v33
	v_add_f32_e32 v20, v32, v33
	s_delay_alu instid0(VALU_DEP_4)
	v_fma_f32 v7, v9, v22, -v23
	v_mul_f32_e32 v31, v4, v31
	v_fma_f32 v4, v11, v28, -v29
	v_add_f32_e32 v11, v3, v2
	v_sub_f32_e32 v2, v3, v2
	v_add_f32_e32 v18, v7, v6
	v_fma_f32 v5, v5, v30, -v31
	v_dual_sub_f32 v9, v34, v35 :: v_dual_add_f32 v22, v36, v37
	s_delay_alu instid0(VALU_DEP_2) | instskip(SKIP_1) | instid1(VALU_DEP_3)
	v_sub_f32_e32 v3, v5, v4
	v_dual_add_f32 v17, v4, v5 :: v_dual_sub_f32 v4, v7, v6
	v_sub_f32_e32 v6, v9, v10
	v_dual_add_f32 v7, v9, v10 :: v_dual_sub_f32 v10, v10, v8
	s_delay_alu instid0(VALU_DEP_4) | instskip(SKIP_3) | instid1(VALU_DEP_4)
	v_dual_sub_f32 v28, v2, v3 :: v_dual_add_f32 v21, v35, v34
	v_dual_add_f32 v24, v18, v11 :: v_dual_sub_f32 v5, v8, v9
	v_sub_f32_e32 v9, v11, v17
	v_sub_f32_e32 v23, v17, v18
	v_dual_sub_f32 v25, v20, v21 :: v_dual_mul_f32 v6, 0x3f08b237, v6
	v_dual_sub_f32 v26, v21, v22 :: v_dual_add_f32 v27, v22, v20
	v_sub_f32_e32 v29, v3, v4
	v_sub_f32_e32 v11, v18, v11
	;; [unrolled: 1-line block ×3, first 2 shown]
	v_mul_f32_e32 v20, 0x3f4a47b2, v25
	v_dual_mul_f32 v22, 0x3d64c772, v26 :: v_dual_add_f32 v3, v3, v4
	v_dual_sub_f32 v4, v4, v2 :: v_dual_add_f32 v7, v7, v8
	s_delay_alu instid0(VALU_DEP_3) | instskip(SKIP_1) | instid1(VALU_DEP_4)
	v_dual_fmamk_f32 v26, v26, 0x3d64c772, v20 :: v_dual_add_f32 v17, v17, v24
	v_mul_f32_e32 v24, 0x3f08b237, v29
	v_add_f32_e32 v2, v3, v2
	v_mul_f32_e32 v3, 0xbf5ff5aa, v10
	v_add_f32_e32 v21, v21, v27
	v_fmamk_f32 v27, v5, 0xbeae86e6, v6
	v_mul_f32_e32 v8, 0x3f4a47b2, v9
	v_fma_f32 v6, 0xbf5ff5aa, v10, -v6
	v_fma_f32 v30, 0x3eae86e6, v5, -v3
	v_fma_f32 v5, 0xbf3bfb3b, v18, -v20
	v_mul_f32_e32 v25, 0xbf5ff5aa, v4
	v_fma_f32 v3, 0xbf3bfb3b, v11, -v8
	v_fmamk_f32 v29, v28, 0xbeae86e6, v24
	v_dual_fmac_f32 v30, 0xbee1c552, v7 :: v_dual_add_f32 v1, v1, v17
	v_fmac_f32_e32 v6, 0xbee1c552, v7
	v_fma_f32 v20, 0x3eae86e6, v28, -v25
	v_fma_f32 v24, 0xbf5ff5aa, v4, -v24
	v_fma_f32 v4, 0x3f3bfb3b, v18, -v22
	s_delay_alu instid0(VALU_DEP_3) | instskip(SKIP_1) | instid1(VALU_DEP_4)
	v_fmac_f32_e32 v20, 0xbee1c552, v2
	v_dual_mul_f32 v9, 0x3d64c772, v23 :: v_dual_add_f32 v0, v0, v21
	v_fmac_f32_e32 v24, 0xbee1c552, v2
	v_fmac_f32_e32 v29, 0xbee1c552, v2
	s_delay_alu instid0(VALU_DEP_3) | instskip(NEXT) | instid1(VALU_DEP_1)
	v_fmamk_f32 v10, v21, 0xbf955555, v0
	v_dual_add_f32 v22, v5, v10 :: v_dual_fmamk_f32 v23, v23, 0x3d64c772, v8
	v_fma_f32 v8, 0x3f3bfb3b, v11, -v9
	v_fmamk_f32 v9, v17, 0xbf955555, v1
	s_delay_alu instid0(VALU_DEP_1) | instskip(NEXT) | instid1(VALU_DEP_3)
	v_add_f32_e32 v2, v23, v9
	v_dual_add_f32 v8, v8, v9 :: v_dual_fmac_f32 v27, 0xbee1c552, v7
	s_delay_alu instid0(VALU_DEP_1)
	v_dual_sub_f32 v7, v8, v6 :: v_dual_sub_f32 v18, v2, v27
	v_add_f32_e32 v11, v3, v9
	v_add_f32_e32 v21, v26, v10
	;; [unrolled: 1-line block ×5, first 2 shown]
	v_dual_add_f32 v5, v30, v11 :: v_dual_add_f32 v10, v20, v22
	s_delay_alu instid0(VALU_DEP_4)
	v_dual_add_f32 v6, v24, v23 :: v_dual_add_f32 v17, v29, v21
	v_dual_sub_f32 v11, v11, v30 :: v_dual_sub_f32 v2, v21, v29
	v_sub_f32_e32 v8, v23, v24
	v_sub_f32_e32 v4, v22, v20
	ds_store_2addr_stride64_b64 v19, v[0:1], v[17:18] offset1:3
	ds_store_2addr_stride64_b64 v19, v[10:11], v[8:9] offset0:6 offset1:9
	ds_store_2addr_stride64_b64 v19, v[6:7], v[4:5] offset0:12 offset1:15
	ds_store_b64 v19, v[2:3] offset:9216
.LBB0_23:
	s_wait_alu 0xfffe
	s_or_b32 exec_lo, exec_lo, s1
	global_wb scope:SCOPE_SE
	s_wait_dscnt 0x0
	s_barrier_signal -1
	s_barrier_wait -1
	global_inv scope:SCOPE_SE
	s_and_saveexec_b32 s0, vcc_lo
	s_cbranch_execz .LBB0_25
; %bb.24:
	v_mul_lo_u32 v2, s3, v14
	v_mul_lo_u32 v3, s2, v15
	v_mad_co_u64_u32 v[0:1], null, s2, v14, 0
	v_lshlrev_b64_e32 v[4:5], 3, v[12:13]
	v_dual_mov_b32 v17, 0 :: v_dual_add_nc_u32 v6, 0xe0, v16
	v_add_nc_u32_e32 v8, 0x1c0, v16
	v_lshl_add_u32 v22, v16, 3, 0
	s_delay_alu instid0(VALU_DEP_3)
	v_dual_mov_b32 v9, v17 :: v_dual_add_nc_u32 v10, 0x2a0, v16
	v_add3_u32 v1, v1, v3, v2
	v_mov_b32_e32 v7, v17
	v_lshlrev_b64_e32 v[13:14], 3, v[16:17]
	v_add_nc_u32_e32 v18, 0xe00, v22
	v_lshlrev_b64_e32 v[8:9], 3, v[8:9]
	v_lshlrev_b64_e32 v[11:12], 3, v[0:1]
	ds_load_2addr_b64 v[0:3], v22 offset1:224
	v_dual_mov_b32 v21, v17 :: v_dual_add_nc_u32 v20, 0x380, v16
	v_add_nc_u32_e32 v16, 0x460, v16
	v_add_co_u32 v11, vcc_lo, s6, v11
	s_wait_alu 0xfffd
	v_add_co_ci_u32_e32 v12, vcc_lo, s7, v12, vcc_lo
	v_lshlrev_b64_e32 v[20:21], 3, v[20:21]
	s_delay_alu instid0(VALU_DEP_3) | instskip(SKIP_1) | instid1(VALU_DEP_3)
	v_add_co_u32 v24, vcc_lo, v11, v4
	s_wait_alu 0xfffd
	v_add_co_ci_u32_e32 v25, vcc_lo, v12, v5, vcc_lo
	v_lshlrev_b64_e32 v[4:5], 3, v[6:7]
	s_delay_alu instid0(VALU_DEP_3) | instskip(SKIP_3) | instid1(VALU_DEP_4)
	v_add_co_u32 v12, vcc_lo, v24, v13
	v_mov_b32_e32 v11, v17
	s_wait_alu 0xfffd
	v_add_co_ci_u32_e32 v13, vcc_lo, v25, v14, vcc_lo
	v_add_co_u32 v14, vcc_lo, v24, v4
	s_wait_alu 0xfffd
	v_add_co_ci_u32_e32 v15, vcc_lo, v25, v5, vcc_lo
	ds_load_2addr_b64 v[4:7], v18 offset1:224
	v_lshlrev_b64_e32 v[18:19], 3, v[10:11]
	v_add_nc_u32_e32 v10, 0x1c00, v22
	v_add_co_u32 v22, vcc_lo, v24, v8
	s_wait_alu 0xfffd
	v_add_co_ci_u32_e32 v23, vcc_lo, v25, v9, vcc_lo
	ds_load_2addr_b64 v[8:11], v10 offset1:224
	v_add_co_u32 v18, vcc_lo, v24, v18
	v_lshlrev_b64_e32 v[16:17], 3, v[16:17]
	s_wait_alu 0xfffd
	v_add_co_ci_u32_e32 v19, vcc_lo, v25, v19, vcc_lo
	v_add_co_u32 v20, vcc_lo, v24, v20
	s_wait_alu 0xfffd
	v_add_co_ci_u32_e32 v21, vcc_lo, v25, v21, vcc_lo
	v_add_co_u32 v16, vcc_lo, v24, v16
	s_wait_alu 0xfffd
	v_add_co_ci_u32_e32 v17, vcc_lo, v25, v17, vcc_lo
	s_wait_dscnt 0x2
	s_clause 0x1
	global_store_b64 v[12:13], v[0:1], off
	global_store_b64 v[14:15], v[2:3], off
	s_wait_dscnt 0x1
	s_clause 0x1
	global_store_b64 v[22:23], v[4:5], off
	global_store_b64 v[18:19], v[6:7], off
	;; [unrolled: 4-line block ×3, first 2 shown]
.LBB0_25:
	s_nop 0
	s_sendmsg sendmsg(MSG_DEALLOC_VGPRS)
	s_endpgm
	.section	.rodata,"a",@progbits
	.p2align	6, 0x0
	.amdhsa_kernel fft_rtc_back_len1344_factors_2_2_2_2_2_2_3_7_wgs_224_tpt_224_halfLds_sp_op_CI_CI_unitstride_sbrr_C2R_dirReg
		.amdhsa_group_segment_fixed_size 0
		.amdhsa_private_segment_fixed_size 0
		.amdhsa_kernarg_size 104
		.amdhsa_user_sgpr_count 2
		.amdhsa_user_sgpr_dispatch_ptr 0
		.amdhsa_user_sgpr_queue_ptr 0
		.amdhsa_user_sgpr_kernarg_segment_ptr 1
		.amdhsa_user_sgpr_dispatch_id 0
		.amdhsa_user_sgpr_private_segment_size 0
		.amdhsa_wavefront_size32 1
		.amdhsa_uses_dynamic_stack 0
		.amdhsa_enable_private_segment 0
		.amdhsa_system_sgpr_workgroup_id_x 1
		.amdhsa_system_sgpr_workgroup_id_y 0
		.amdhsa_system_sgpr_workgroup_id_z 0
		.amdhsa_system_sgpr_workgroup_info 0
		.amdhsa_system_vgpr_workitem_id 0
		.amdhsa_next_free_vgpr 38
		.amdhsa_next_free_sgpr 39
		.amdhsa_reserve_vcc 1
		.amdhsa_float_round_mode_32 0
		.amdhsa_float_round_mode_16_64 0
		.amdhsa_float_denorm_mode_32 3
		.amdhsa_float_denorm_mode_16_64 3
		.amdhsa_fp16_overflow 0
		.amdhsa_workgroup_processor_mode 1
		.amdhsa_memory_ordered 1
		.amdhsa_forward_progress 0
		.amdhsa_round_robin_scheduling 0
		.amdhsa_exception_fp_ieee_invalid_op 0
		.amdhsa_exception_fp_denorm_src 0
		.amdhsa_exception_fp_ieee_div_zero 0
		.amdhsa_exception_fp_ieee_overflow 0
		.amdhsa_exception_fp_ieee_underflow 0
		.amdhsa_exception_fp_ieee_inexact 0
		.amdhsa_exception_int_div_zero 0
	.end_amdhsa_kernel
	.text
.Lfunc_end0:
	.size	fft_rtc_back_len1344_factors_2_2_2_2_2_2_3_7_wgs_224_tpt_224_halfLds_sp_op_CI_CI_unitstride_sbrr_C2R_dirReg, .Lfunc_end0-fft_rtc_back_len1344_factors_2_2_2_2_2_2_3_7_wgs_224_tpt_224_halfLds_sp_op_CI_CI_unitstride_sbrr_C2R_dirReg
                                        ; -- End function
	.section	.AMDGPU.csdata,"",@progbits
; Kernel info:
; codeLenInByte = 6296
; NumSgprs: 41
; NumVgprs: 38
; ScratchSize: 0
; MemoryBound: 0
; FloatMode: 240
; IeeeMode: 1
; LDSByteSize: 0 bytes/workgroup (compile time only)
; SGPRBlocks: 5
; VGPRBlocks: 4
; NumSGPRsForWavesPerEU: 41
; NumVGPRsForWavesPerEU: 38
; Occupancy: 16
; WaveLimiterHint : 1
; COMPUTE_PGM_RSRC2:SCRATCH_EN: 0
; COMPUTE_PGM_RSRC2:USER_SGPR: 2
; COMPUTE_PGM_RSRC2:TRAP_HANDLER: 0
; COMPUTE_PGM_RSRC2:TGID_X_EN: 1
; COMPUTE_PGM_RSRC2:TGID_Y_EN: 0
; COMPUTE_PGM_RSRC2:TGID_Z_EN: 0
; COMPUTE_PGM_RSRC2:TIDIG_COMP_CNT: 0
	.text
	.p2alignl 7, 3214868480
	.fill 96, 4, 3214868480
	.type	__hip_cuid_808235ee28f68914,@object ; @__hip_cuid_808235ee28f68914
	.section	.bss,"aw",@nobits
	.globl	__hip_cuid_808235ee28f68914
__hip_cuid_808235ee28f68914:
	.byte	0                               ; 0x0
	.size	__hip_cuid_808235ee28f68914, 1

	.ident	"AMD clang version 19.0.0git (https://github.com/RadeonOpenCompute/llvm-project roc-6.4.0 25133 c7fe45cf4b819c5991fe208aaa96edf142730f1d)"
	.section	".note.GNU-stack","",@progbits
	.addrsig
	.addrsig_sym __hip_cuid_808235ee28f68914
	.amdgpu_metadata
---
amdhsa.kernels:
  - .args:
      - .actual_access:  read_only
        .address_space:  global
        .offset:         0
        .size:           8
        .value_kind:     global_buffer
      - .offset:         8
        .size:           8
        .value_kind:     by_value
      - .actual_access:  read_only
        .address_space:  global
        .offset:         16
        .size:           8
        .value_kind:     global_buffer
      - .actual_access:  read_only
        .address_space:  global
        .offset:         24
        .size:           8
        .value_kind:     global_buffer
      - .actual_access:  read_only
        .address_space:  global
        .offset:         32
        .size:           8
        .value_kind:     global_buffer
      - .offset:         40
        .size:           8
        .value_kind:     by_value
      - .actual_access:  read_only
        .address_space:  global
        .offset:         48
        .size:           8
        .value_kind:     global_buffer
      - .actual_access:  read_only
        .address_space:  global
        .offset:         56
        .size:           8
        .value_kind:     global_buffer
      - .offset:         64
        .size:           4
        .value_kind:     by_value
      - .actual_access:  read_only
        .address_space:  global
        .offset:         72
        .size:           8
        .value_kind:     global_buffer
      - .actual_access:  read_only
        .address_space:  global
        .offset:         80
        .size:           8
        .value_kind:     global_buffer
      - .actual_access:  read_only
        .address_space:  global
        .offset:         88
        .size:           8
        .value_kind:     global_buffer
      - .actual_access:  write_only
        .address_space:  global
        .offset:         96
        .size:           8
        .value_kind:     global_buffer
    .group_segment_fixed_size: 0
    .kernarg_segment_align: 8
    .kernarg_segment_size: 104
    .language:       OpenCL C
    .language_version:
      - 2
      - 0
    .max_flat_workgroup_size: 224
    .name:           fft_rtc_back_len1344_factors_2_2_2_2_2_2_3_7_wgs_224_tpt_224_halfLds_sp_op_CI_CI_unitstride_sbrr_C2R_dirReg
    .private_segment_fixed_size: 0
    .sgpr_count:     41
    .sgpr_spill_count: 0
    .symbol:         fft_rtc_back_len1344_factors_2_2_2_2_2_2_3_7_wgs_224_tpt_224_halfLds_sp_op_CI_CI_unitstride_sbrr_C2R_dirReg.kd
    .uniform_work_group_size: 1
    .uses_dynamic_stack: false
    .vgpr_count:     38
    .vgpr_spill_count: 0
    .wavefront_size: 32
    .workgroup_processor_mode: 1
amdhsa.target:   amdgcn-amd-amdhsa--gfx1201
amdhsa.version:
  - 1
  - 2
...

	.end_amdgpu_metadata
